;; amdgpu-corpus repo=ROCm/rocFFT kind=compiled arch=gfx906 opt=O3
	.text
	.amdgcn_target "amdgcn-amd-amdhsa--gfx906"
	.amdhsa_code_object_version 6
	.protected	fft_rtc_back_len1560_factors_13_2_2_10_3_wgs_156_tpt_156_sp_ip_CI_unitstride_sbrr_R2C_dirReg ; -- Begin function fft_rtc_back_len1560_factors_13_2_2_10_3_wgs_156_tpt_156_sp_ip_CI_unitstride_sbrr_R2C_dirReg
	.globl	fft_rtc_back_len1560_factors_13_2_2_10_3_wgs_156_tpt_156_sp_ip_CI_unitstride_sbrr_R2C_dirReg
	.p2align	8
	.type	fft_rtc_back_len1560_factors_13_2_2_10_3_wgs_156_tpt_156_sp_ip_CI_unitstride_sbrr_R2C_dirReg,@function
fft_rtc_back_len1560_factors_13_2_2_10_3_wgs_156_tpt_156_sp_ip_CI_unitstride_sbrr_R2C_dirReg: ; @fft_rtc_back_len1560_factors_13_2_2_10_3_wgs_156_tpt_156_sp_ip_CI_unitstride_sbrr_R2C_dirReg
; %bb.0:
	s_load_dwordx2 s[12:13], s[4:5], 0x50
	s_load_dwordx4 s[8:11], s[4:5], 0x0
	s_load_dwordx2 s[2:3], s[4:5], 0x18
	v_mul_u32_u24_e32 v1, 0x1a5, v0
	v_add_u32_sdwa v5, s6, v1 dst_sel:DWORD dst_unused:UNUSED_PAD src0_sel:DWORD src1_sel:WORD_1
	v_mov_b32_e32 v3, 0
	s_waitcnt lgkmcnt(0)
	v_cmp_lt_u64_e64 s[0:1], s[10:11], 2
	v_mov_b32_e32 v1, 0
	v_mov_b32_e32 v6, v3
	s_and_b64 vcc, exec, s[0:1]
	v_mov_b32_e32 v2, 0
	s_cbranch_vccnz .LBB0_8
; %bb.1:
	s_load_dwordx2 s[0:1], s[4:5], 0x10
	s_add_u32 s6, s2, 8
	s_addc_u32 s7, s3, 0
	v_mov_b32_e32 v1, 0
	v_mov_b32_e32 v2, 0
	s_waitcnt lgkmcnt(0)
	s_add_u32 s14, s0, 8
	s_addc_u32 s15, s1, 0
	s_mov_b64 s[16:17], 1
.LBB0_2:                                ; =>This Inner Loop Header: Depth=1
	s_load_dwordx2 s[18:19], s[14:15], 0x0
                                        ; implicit-def: $vgpr7_vgpr8
	s_waitcnt lgkmcnt(0)
	v_or_b32_e32 v4, s19, v6
	v_cmp_ne_u64_e32 vcc, 0, v[3:4]
	s_and_saveexec_b64 s[0:1], vcc
	s_xor_b64 s[20:21], exec, s[0:1]
	s_cbranch_execz .LBB0_4
; %bb.3:                                ;   in Loop: Header=BB0_2 Depth=1
	v_cvt_f32_u32_e32 v4, s18
	v_cvt_f32_u32_e32 v7, s19
	s_sub_u32 s0, 0, s18
	s_subb_u32 s1, 0, s19
	v_mac_f32_e32 v4, 0x4f800000, v7
	v_rcp_f32_e32 v4, v4
	v_mul_f32_e32 v4, 0x5f7ffffc, v4
	v_mul_f32_e32 v7, 0x2f800000, v4
	v_trunc_f32_e32 v7, v7
	v_mac_f32_e32 v4, 0xcf800000, v7
	v_cvt_u32_f32_e32 v7, v7
	v_cvt_u32_f32_e32 v4, v4
	v_mul_lo_u32 v8, s0, v7
	v_mul_hi_u32 v9, s0, v4
	v_mul_lo_u32 v11, s1, v4
	v_mul_lo_u32 v10, s0, v4
	v_add_u32_e32 v8, v9, v8
	v_add_u32_e32 v8, v8, v11
	v_mul_hi_u32 v9, v4, v10
	v_mul_lo_u32 v11, v4, v8
	v_mul_hi_u32 v13, v4, v8
	v_mul_hi_u32 v12, v7, v10
	v_mul_lo_u32 v10, v7, v10
	v_mul_hi_u32 v14, v7, v8
	v_add_co_u32_e32 v9, vcc, v9, v11
	v_addc_co_u32_e32 v11, vcc, 0, v13, vcc
	v_mul_lo_u32 v8, v7, v8
	v_add_co_u32_e32 v9, vcc, v9, v10
	v_addc_co_u32_e32 v9, vcc, v11, v12, vcc
	v_addc_co_u32_e32 v10, vcc, 0, v14, vcc
	v_add_co_u32_e32 v8, vcc, v9, v8
	v_addc_co_u32_e32 v9, vcc, 0, v10, vcc
	v_add_co_u32_e32 v4, vcc, v4, v8
	v_addc_co_u32_e32 v7, vcc, v7, v9, vcc
	v_mul_lo_u32 v8, s0, v7
	v_mul_hi_u32 v9, s0, v4
	v_mul_lo_u32 v10, s1, v4
	v_mul_lo_u32 v11, s0, v4
	v_add_u32_e32 v8, v9, v8
	v_add_u32_e32 v8, v8, v10
	v_mul_lo_u32 v12, v4, v8
	v_mul_hi_u32 v13, v4, v11
	v_mul_hi_u32 v14, v4, v8
	;; [unrolled: 1-line block ×3, first 2 shown]
	v_mul_lo_u32 v11, v7, v11
	v_mul_hi_u32 v9, v7, v8
	v_add_co_u32_e32 v12, vcc, v13, v12
	v_addc_co_u32_e32 v13, vcc, 0, v14, vcc
	v_mul_lo_u32 v8, v7, v8
	v_add_co_u32_e32 v11, vcc, v12, v11
	v_addc_co_u32_e32 v10, vcc, v13, v10, vcc
	v_addc_co_u32_e32 v9, vcc, 0, v9, vcc
	v_add_co_u32_e32 v8, vcc, v10, v8
	v_addc_co_u32_e32 v9, vcc, 0, v9, vcc
	v_add_co_u32_e32 v4, vcc, v4, v8
	v_addc_co_u32_e32 v9, vcc, v7, v9, vcc
	v_mad_u64_u32 v[7:8], s[0:1], v5, v9, 0
	v_mul_hi_u32 v10, v5, v4
	v_add_co_u32_e32 v11, vcc, v10, v7
	v_addc_co_u32_e32 v12, vcc, 0, v8, vcc
	v_mad_u64_u32 v[7:8], s[0:1], v6, v4, 0
	v_mad_u64_u32 v[9:10], s[0:1], v6, v9, 0
	v_add_co_u32_e32 v4, vcc, v11, v7
	v_addc_co_u32_e32 v4, vcc, v12, v8, vcc
	v_addc_co_u32_e32 v7, vcc, 0, v10, vcc
	v_add_co_u32_e32 v4, vcc, v4, v9
	v_addc_co_u32_e32 v9, vcc, 0, v7, vcc
	v_mul_lo_u32 v10, s19, v4
	v_mul_lo_u32 v11, s18, v9
	v_mad_u64_u32 v[7:8], s[0:1], s18, v4, 0
	v_add3_u32 v8, v8, v11, v10
	v_sub_u32_e32 v10, v6, v8
	v_mov_b32_e32 v11, s19
	v_sub_co_u32_e32 v7, vcc, v5, v7
	v_subb_co_u32_e64 v10, s[0:1], v10, v11, vcc
	v_subrev_co_u32_e64 v11, s[0:1], s18, v7
	v_subbrev_co_u32_e64 v10, s[0:1], 0, v10, s[0:1]
	v_cmp_le_u32_e64 s[0:1], s19, v10
	v_cndmask_b32_e64 v12, 0, -1, s[0:1]
	v_cmp_le_u32_e64 s[0:1], s18, v11
	v_cndmask_b32_e64 v11, 0, -1, s[0:1]
	v_cmp_eq_u32_e64 s[0:1], s19, v10
	v_cndmask_b32_e64 v10, v12, v11, s[0:1]
	v_add_co_u32_e64 v11, s[0:1], 2, v4
	v_addc_co_u32_e64 v12, s[0:1], 0, v9, s[0:1]
	v_add_co_u32_e64 v13, s[0:1], 1, v4
	v_addc_co_u32_e64 v14, s[0:1], 0, v9, s[0:1]
	v_subb_co_u32_e32 v8, vcc, v6, v8, vcc
	v_cmp_ne_u32_e64 s[0:1], 0, v10
	v_cmp_le_u32_e32 vcc, s19, v8
	v_cndmask_b32_e64 v10, v14, v12, s[0:1]
	v_cndmask_b32_e64 v12, 0, -1, vcc
	v_cmp_le_u32_e32 vcc, s18, v7
	v_cndmask_b32_e64 v7, 0, -1, vcc
	v_cmp_eq_u32_e32 vcc, s19, v8
	v_cndmask_b32_e32 v7, v12, v7, vcc
	v_cmp_ne_u32_e32 vcc, 0, v7
	v_cndmask_b32_e64 v7, v13, v11, s[0:1]
	v_cndmask_b32_e32 v8, v9, v10, vcc
	v_cndmask_b32_e32 v7, v4, v7, vcc
.LBB0_4:                                ;   in Loop: Header=BB0_2 Depth=1
	s_andn2_saveexec_b64 s[0:1], s[20:21]
	s_cbranch_execz .LBB0_6
; %bb.5:                                ;   in Loop: Header=BB0_2 Depth=1
	v_cvt_f32_u32_e32 v4, s18
	s_sub_i32 s20, 0, s18
	v_rcp_iflag_f32_e32 v4, v4
	v_mul_f32_e32 v4, 0x4f7ffffe, v4
	v_cvt_u32_f32_e32 v4, v4
	v_mul_lo_u32 v7, s20, v4
	v_mul_hi_u32 v7, v4, v7
	v_add_u32_e32 v4, v4, v7
	v_mul_hi_u32 v4, v5, v4
	v_mul_lo_u32 v7, v4, s18
	v_add_u32_e32 v8, 1, v4
	v_sub_u32_e32 v7, v5, v7
	v_subrev_u32_e32 v9, s18, v7
	v_cmp_le_u32_e32 vcc, s18, v7
	v_cndmask_b32_e32 v7, v7, v9, vcc
	v_cndmask_b32_e32 v4, v4, v8, vcc
	v_add_u32_e32 v8, 1, v4
	v_cmp_le_u32_e32 vcc, s18, v7
	v_cndmask_b32_e32 v7, v4, v8, vcc
	v_mov_b32_e32 v8, v3
.LBB0_6:                                ;   in Loop: Header=BB0_2 Depth=1
	s_or_b64 exec, exec, s[0:1]
	v_mul_lo_u32 v4, v8, s18
	v_mul_lo_u32 v11, v7, s19
	v_mad_u64_u32 v[9:10], s[0:1], v7, s18, 0
	s_load_dwordx2 s[0:1], s[6:7], 0x0
	s_add_u32 s16, s16, 1
	v_add3_u32 v4, v10, v11, v4
	v_sub_co_u32_e32 v5, vcc, v5, v9
	v_subb_co_u32_e32 v4, vcc, v6, v4, vcc
	s_waitcnt lgkmcnt(0)
	v_mul_lo_u32 v4, s0, v4
	v_mul_lo_u32 v6, s1, v5
	v_mad_u64_u32 v[1:2], s[0:1], s0, v5, v[1:2]
	s_addc_u32 s17, s17, 0
	s_add_u32 s6, s6, 8
	v_add3_u32 v2, v6, v2, v4
	v_mov_b32_e32 v4, s10
	v_mov_b32_e32 v5, s11
	s_addc_u32 s7, s7, 0
	v_cmp_ge_u64_e32 vcc, s[16:17], v[4:5]
	s_add_u32 s14, s14, 8
	s_addc_u32 s15, s15, 0
	s_cbranch_vccnz .LBB0_9
; %bb.7:                                ;   in Loop: Header=BB0_2 Depth=1
	v_mov_b32_e32 v5, v7
	v_mov_b32_e32 v6, v8
	s_branch .LBB0_2
.LBB0_8:
	v_mov_b32_e32 v8, v6
	v_mov_b32_e32 v7, v5
.LBB0_9:
	s_lshl_b64 s[0:1], s[10:11], 3
	s_add_u32 s0, s2, s0
	s_addc_u32 s1, s3, s1
	s_load_dwordx2 s[2:3], s[0:1], 0x0
	s_load_dwordx2 s[6:7], s[4:5], 0x20
	s_waitcnt lgkmcnt(0)
	v_mad_u64_u32 v[1:2], s[0:1], s2, v7, v[1:2]
	s_mov_b32 s0, 0x1a41a42
	v_mul_lo_u32 v3, s2, v8
	v_mul_lo_u32 v4, s3, v7
	v_mul_hi_u32 v5, v0, s0
	v_cmp_gt_u64_e64 s[0:1], s[6:7], v[7:8]
	v_add3_u32 v2, v4, v2, v3
	v_mul_u32_u24_e32 v3, 0x9c, v5
	v_sub_u32_e32 v24, v0, v3
	v_lshlrev_b64 v[26:27], 3, v[1:2]
	v_lshl_add_u32 v34, v24, 3, 0
	s_and_saveexec_b64 s[2:3], s[0:1]
	s_cbranch_execz .LBB0_11
; %bb.10:
	v_mov_b32_e32 v25, 0
	v_mov_b32_e32 v0, s13
	v_add_co_u32_e32 v2, vcc, s12, v26
	v_addc_co_u32_e32 v3, vcc, v0, v27, vcc
	v_lshlrev_b64 v[0:1], 3, v[24:25]
	s_movk_i32 s4, 0x1000
	v_add_co_u32_e32 v0, vcc, v2, v0
	v_addc_co_u32_e32 v1, vcc, v3, v1, vcc
	v_add_co_u32_e32 v10, vcc, s4, v0
	v_addc_co_u32_e32 v11, vcc, 0, v1, vcc
	global_load_dwordx2 v[2:3], v[0:1], off
	global_load_dwordx2 v[4:5], v[0:1], off offset:1248
	global_load_dwordx2 v[6:7], v[0:1], off offset:2496
	;; [unrolled: 1-line block ×3, first 2 shown]
	v_add_co_u32_e32 v0, vcc, 0x2000, v0
	v_addc_co_u32_e32 v1, vcc, 0, v1, vcc
	global_load_dwordx2 v[12:13], v[10:11], off offset:896
	global_load_dwordx2 v[14:15], v[10:11], off offset:2144
	;; [unrolled: 1-line block ×6, first 2 shown]
	v_add_u32_e32 v0, 0x800, v34
	v_add_u32_e32 v1, 0x1200, v34
	v_add_u32_e32 v10, 0x1c00, v34
	v_add_u32_e32 v11, 0x2400, v34
	s_waitcnt vmcnt(8)
	ds_write2_b64 v34, v[2:3], v[4:5] offset1:156
	s_waitcnt vmcnt(6)
	ds_write2_b64 v0, v[6:7], v[8:9] offset0:56 offset1:212
	s_waitcnt vmcnt(4)
	ds_write2_b64 v1, v[12:13], v[14:15] offset0:48 offset1:204
	;; [unrolled: 2-line block ×4, first 2 shown]
.LBB0_11:
	s_or_b64 exec, exec, s[2:3]
	s_waitcnt lgkmcnt(0)
	s_barrier
	ds_read2_b64 v[0:3], v34 offset1:120
	ds_read_b64 v[32:33], v34 offset:11520
	v_add_u32_e32 v4, 0x400, v34
	v_add_u32_e32 v35, 0x2400, v34
	ds_read2_b64 v[4:7], v4 offset0:112 offset1:232
	ds_read2_b64 v[8:11], v35 offset0:48 offset1:168
	s_waitcnt lgkmcnt(2)
	v_sub_f32_e32 v49, v3, v33
	v_add_f32_e32 v37, v32, v2
	s_mov_b32 s4, 0x3f116cb1
	v_mul_f32_e32 v53, 0xbf52af12, v49
	s_waitcnt lgkmcnt(0)
	v_sub_f32_e32 v50, v5, v11
	v_fma_f32 v12, v37, s4, -v53
	s_mov_b32 s5, 0xbeb58ec6
	v_add_f32_e32 v38, v10, v4
	v_mul_f32_e32 v55, 0xbf6f5d39, v50
	v_add_f32_e32 v52, v33, v3
	v_add_f32_e32 v12, v0, v12
	v_fma_f32 v13, v38, s5, -v55
	v_mul_f32_e32 v59, 0x3f116cb1, v52
	v_add_f32_e32 v54, v11, v5
	v_add_f32_e32 v12, v13, v12
	v_sub_f32_e32 v40, v2, v32
	v_mov_b32_e32 v13, v59
	v_mul_f32_e32 v60, 0xbeb58ec6, v54
	v_fmac_f32_e32 v13, 0xbf52af12, v40
	v_sub_f32_e32 v41, v4, v10
	v_mov_b32_e32 v14, v60
	v_sub_f32_e32 v51, v7, v9
	v_add_f32_e32 v13, v1, v13
	v_fmac_f32_e32 v14, 0xbf6f5d39, v41
	s_mov_b32 s6, 0xbf788fa5
	v_add_f32_e32 v39, v8, v6
	v_mul_f32_e32 v58, 0xbe750f2a, v51
	v_add_f32_e32 v20, v14, v13
	v_fma_f32 v13, v39, s6, -v58
	v_add_f32_e32 v21, v13, v12
	v_add_u32_e32 v12, 0xc00, v34
	v_add_u32_e32 v36, 0x1c00, v34
	ds_read2_b64 v[16:19], v12 offset0:96 offset1:216
	ds_read2_b64 v[12:15], v36 offset0:64 offset1:184
	v_add_f32_e32 v57, v9, v7
	v_mul_f32_e32 v63, 0xbf788fa5, v57
	v_sub_f32_e32 v42, v6, v8
	v_mov_b32_e32 v22, v63
	s_waitcnt lgkmcnt(0)
	v_sub_f32_e32 v56, v17, v15
	v_fmac_f32_e32 v22, 0xbe750f2a, v42
	s_mov_b32 s7, 0xbf3f9e67
	v_add_f32_e32 v43, v14, v16
	v_mul_f32_e32 v64, 0x3f29c268, v56
	v_add_f32_e32 v62, v15, v17
	v_add_f32_e32 v20, v22, v20
	v_fma_f32 v22, v43, s7, -v64
	v_mul_f32_e32 v67, 0xbf3f9e67, v62
	v_add_f32_e32 v21, v22, v21
	v_sub_f32_e32 v45, v16, v14
	v_mov_b32_e32 v22, v67
	v_sub_f32_e32 v61, v19, v13
	v_fmac_f32_e32 v22, 0x3f29c268, v45
	s_mov_b32 s10, 0x3df6dbef
	v_add_f32_e32 v44, v12, v18
	v_mul_f32_e32 v68, 0x3f7e222b, v61
	v_add_f32_e32 v28, v22, v20
	v_fma_f32 v20, v44, s10, -v68
	v_add_u32_e32 v25, 0x1400, v34
	v_add_f32_e32 v29, v20, v21
	ds_read2_b64 v[20:23], v25 offset0:80 offset1:200
	v_add_f32_e32 v66, v13, v19
	v_mul_f32_e32 v70, 0x3df6dbef, v66
	v_sub_f32_e32 v46, v18, v12
	v_mov_b32_e32 v30, v70
	s_waitcnt lgkmcnt(0)
	v_sub_f32_e32 v65, v21, v23
	v_fmac_f32_e32 v30, 0x3f7e222b, v46
	s_mov_b32 s11, 0x3f62ad3f
	v_add_f32_e32 v47, v22, v20
	v_mul_f32_e32 v71, 0x3eedf032, v65
	v_add_f32_e32 v69, v23, v21
	v_add_f32_e32 v30, v30, v28
	v_fma_f32 v28, v47, s11, -v71
	v_mul_f32_e32 v72, 0x3f62ad3f, v69
	v_add_f32_e32 v28, v28, v29
	v_sub_f32_e32 v48, v20, v22
	v_mov_b32_e32 v29, v72
	v_fmac_f32_e32 v29, 0x3eedf032, v48
	v_mul_f32_e32 v73, 0xbf7e222b, v49
	v_add_f32_e32 v29, v29, v30
	v_fma_f32 v30, v37, s10, -v73
	v_mul_f32_e32 v74, 0xbe750f2a, v50
	v_add_f32_e32 v30, v0, v30
	v_fma_f32 v31, v38, s6, -v74
	v_mul_f32_e32 v79, 0x3df6dbef, v52
	v_add_f32_e32 v30, v31, v30
	v_mov_b32_e32 v31, v79
	v_mul_f32_e32 v80, 0xbf788fa5, v54
	v_fmac_f32_e32 v31, 0xbf7e222b, v40
	v_mov_b32_e32 v75, v80
	v_add_f32_e32 v31, v1, v31
	v_fmac_f32_e32 v75, 0xbe750f2a, v41
	v_add_f32_e32 v31, v75, v31
	v_mul_f32_e32 v75, 0x3f6f5d39, v51
	v_fma_f32 v76, v39, s5, -v75
	v_mul_f32_e32 v81, 0xbeb58ec6, v57
	v_add_f32_e32 v30, v76, v30
	v_mov_b32_e32 v76, v81
	v_fmac_f32_e32 v76, 0x3f6f5d39, v42
	v_add_f32_e32 v31, v76, v31
	v_mul_f32_e32 v76, 0x3eedf032, v56
	v_fma_f32 v77, v43, s11, -v76
	v_mul_f32_e32 v82, 0x3f62ad3f, v62
	v_add_f32_e32 v30, v77, v30
	v_mov_b32_e32 v77, v82
	;; [unrolled: 7-line block ×3, first 2 shown]
	v_fmac_f32_e32 v78, 0xbf52af12, v46
	v_add_f32_e32 v31, v78, v31
	v_mul_f32_e32 v78, 0xbf29c268, v65
	v_fma_f32 v84, v47, s7, -v78
	v_add_f32_e32 v30, v84, v30
	v_mul_f32_e32 v84, 0xbf3f9e67, v69
	v_mov_b32_e32 v85, v84
	v_fmac_f32_e32 v85, 0xbf29c268, v48
	s_movk_i32 s2, 0x78
	v_add_f32_e32 v31, v85, v31
	v_cmp_gt_u32_e32 vcc, s2, v24
	s_barrier
	s_and_saveexec_b64 s[2:3], vcc
	s_cbranch_execz .LBB0_13
; %bb.12:
	v_mul_f32_e32 v91, 0xbf788fa5, v52
	v_mov_b32_e32 v85, v91
	v_mul_f32_e32 v92, 0x3f62ad3f, v54
	v_fmac_f32_e32 v85, 0x3e750f2a, v40
	v_mov_b32_e32 v86, v92
	v_add_f32_e32 v85, v1, v85
	v_fmac_f32_e32 v86, 0xbeedf032, v41
	v_mul_f32_e32 v93, 0xbf3f9e67, v57
	v_add_f32_e32 v85, v86, v85
	v_mov_b32_e32 v86, v93
	v_fmac_f32_e32 v86, 0x3f29c268, v42
	v_mul_f32_e32 v94, 0x3f116cb1, v62
	v_add_f32_e32 v85, v86, v85
	v_mov_b32_e32 v86, v94
	v_fmac_f32_e32 v86, 0xbf52af12, v45
	v_mul_f32_e32 v95, 0xbeb58ec6, v66
	v_add_f32_e32 v85, v86, v85
	v_mov_b32_e32 v86, v95
	v_fmac_f32_e32 v86, 0x3f6f5d39, v46
	v_mul_f32_e32 v96, 0x3df6dbef, v69
	v_add_f32_e32 v85, v86, v85
	v_mov_b32_e32 v86, v96
	v_fmac_f32_e32 v86, 0xbf7e222b, v48
	v_mul_f32_e32 v97, 0xbe750f2a, v49
	v_add_f32_e32 v86, v86, v85
	v_mov_b32_e32 v85, v97
	v_mul_f32_e32 v98, 0x3eedf032, v50
	v_fmac_f32_e32 v85, 0xbf788fa5, v37
	v_mov_b32_e32 v87, v98
	v_add_f32_e32 v85, v0, v85
	v_fmac_f32_e32 v87, 0x3f62ad3f, v38
	v_mul_f32_e32 v99, 0xbf29c268, v51
	v_add_f32_e32 v85, v87, v85
	v_mov_b32_e32 v87, v99
	v_fmac_f32_e32 v87, 0xbf3f9e67, v39
	v_mul_f32_e32 v100, 0x3f52af12, v56
	v_add_f32_e32 v85, v87, v85
	v_mov_b32_e32 v87, v100
	v_fmac_f32_e32 v87, 0x3f116cb1, v43
	v_mul_f32_e32 v101, 0xbf6f5d39, v61
	v_add_f32_e32 v85, v87, v85
	v_mov_b32_e32 v87, v101
	v_fmac_f32_e32 v87, 0xbeb58ec6, v44
	v_mul_f32_e32 v102, 0x3f7e222b, v65
	v_add_f32_e32 v85, v87, v85
	v_mov_b32_e32 v87, v102
	v_fmac_f32_e32 v87, 0x3df6dbef, v47
	v_mul_f32_e32 v103, 0xbf3f9e67, v52
	v_add_f32_e32 v85, v87, v85
	;; [unrolled: 24-line block ×4, first 2 shown]
	v_mov_b32_e32 v89, v115
	v_mul_f32_e32 v116, 0xbf3f9e67, v54
	v_fmac_f32_e32 v89, 0x3f6f5d39, v40
	v_mov_b32_e32 v90, v116
	v_add_f32_e32 v89, v1, v89
	v_fmac_f32_e32 v90, 0xbf29c268, v41
	v_mul_f32_e32 v117, 0x3f62ad3f, v57
	v_add_f32_e32 v89, v90, v89
	v_mov_b32_e32 v90, v117
	v_fmac_f32_e32 v90, 0xbeedf032, v42
	v_mul_f32_e32 v118, 0x3df6dbef, v62
	v_add_f32_e32 v89, v90, v89
	v_mov_b32_e32 v90, v118
	;; [unrolled: 4-line block ×4, first 2 shown]
	v_mul_f32_e32 v121, 0x3f29c268, v50
	v_fmac_f32_e32 v90, 0xbeb58ec6, v37
	v_mov_b32_e32 v122, v121
	v_add_f32_e32 v90, v0, v90
	v_fmac_f32_e32 v122, 0xbf3f9e67, v38
	v_add_f32_e32 v90, v122, v90
	v_mul_f32_e32 v122, 0x3eedf032, v51
	v_mov_b32_e32 v123, v122
	v_fmac_f32_e32 v123, 0x3f62ad3f, v39
	v_add_f32_e32 v90, v123, v90
	v_mul_f32_e32 v123, 0xbf7e222b, v56
	v_mov_b32_e32 v124, v123
	;; [unrolled: 4-line block ×3, first 2 shown]
	v_fmac_f32_e32 v125, 0xbf788fa5, v44
	v_mul_f32_e32 v126, 0x3f116cb1, v69
	v_add_f32_e32 v125, v125, v90
	v_mov_b32_e32 v90, v126
	v_fmac_f32_e32 v90, 0xbf52af12, v48
	v_mul_f32_e32 v127, 0x3f52af12, v65
	v_add_f32_e32 v90, v90, v89
	v_mov_b32_e32 v89, v127
	v_fmac_f32_e32 v89, 0x3f116cb1, v47
	v_add_f32_e32 v89, v89, v125
	v_mul_f32_e32 v125, 0xbf7e222b, v40
	v_sub_f32_e32 v79, v79, v125
	v_mul_f32_e32 v125, 0xbe750f2a, v41
	v_sub_f32_e32 v80, v80, v125
	v_add_f32_e32 v79, v1, v79
	v_add_f32_e32 v79, v80, v79
	v_mul_f32_e32 v80, 0x3f6f5d39, v42
	v_sub_f32_e32 v80, v81, v80
	v_mul_f32_e32 v81, 0x3df6dbef, v37
	v_add_f32_e32 v73, v81, v73
	v_mul_f32_e32 v81, 0xbf788fa5, v38
	v_add_f32_e32 v74, v81, v74
	v_add_f32_e32 v73, v0, v73
	;; [unrolled: 1-line block ×3, first 2 shown]
	v_mul_f32_e32 v74, 0xbeb58ec6, v39
	v_add_f32_e32 v74, v74, v75
	v_add_f32_e32 v73, v74, v73
	v_mul_f32_e32 v74, 0x3f62ad3f, v43
	v_add_f32_e32 v74, v74, v76
	v_add_f32_e32 v2, v0, v2
	v_fmac_f32_e32 v91, 0xbe750f2a, v40
	v_add_f32_e32 v73, v74, v73
	v_mul_f32_e32 v74, 0x3f116cb1, v44
	v_add_f32_e32 v2, v2, v4
	v_add_f32_e32 v4, v1, v91
	v_fmac_f32_e32 v92, 0x3eedf032, v41
	v_add_f32_e32 v74, v74, v77
	v_add_f32_e32 v4, v92, v4
	v_fmac_f32_e32 v93, 0xbf29c268, v42
	v_add_f32_e32 v73, v74, v73
	v_mul_f32_e32 v74, 0xbf3f9e67, v47
	v_add_f32_e32 v4, v93, v4
	v_fmac_f32_e32 v94, 0x3f52af12, v45
	v_mul_f32_e32 v75, 0x3f116cb1, v37
	v_add_f32_e32 v76, v74, v78
	v_mul_f32_e32 v77, 0xbf52af12, v40
	v_add_f32_e32 v4, v94, v4
	v_fmac_f32_e32 v95, 0xbf6f5d39, v46
	v_add_f32_e32 v73, v76, v73
	v_mul_f32_e32 v76, 0xbeb58ec6, v38
	v_mul_f32_e32 v78, 0xbf6f5d39, v41
	v_sub_f32_e32 v59, v59, v77
	v_add_f32_e32 v53, v75, v53
	v_add_f32_e32 v3, v1, v3
	;; [unrolled: 1-line block ×3, first 2 shown]
	v_fmac_f32_e32 v96, 0x3f7e222b, v48
	v_mul_f32_e32 v77, 0xbf788fa5, v39
	v_sub_f32_e32 v60, v60, v78
	v_mul_f32_e32 v78, 0xbe750f2a, v42
	v_add_f32_e32 v59, v1, v59
	v_add_f32_e32 v53, v0, v53
	;; [unrolled: 1-line block ×5, first 2 shown]
	v_fma_f32 v4, v37, s6, -v97
	v_add_f32_e32 v59, v60, v59
	v_mul_f32_e32 v60, 0xbf3f9e67, v43
	v_sub_f32_e32 v63, v63, v78
	v_mul_f32_e32 v78, 0x3f29c268, v45
	v_add_f32_e32 v53, v55, v53
	v_add_f32_e32 v55, v77, v58
	;; [unrolled: 1-line block ×4, first 2 shown]
	v_fma_f32 v6, v38, s11, -v98
	v_add_f32_e32 v59, v63, v59
	v_mul_f32_e32 v63, 0x3df6dbef, v44
	v_sub_f32_e32 v67, v67, v78
	v_add_f32_e32 v53, v55, v53
	v_add_f32_e32 v55, v60, v64
	v_add_f32_e32 v4, v6, v4
	v_fma_f32 v6, v39, s7, -v99
	v_add_f32_e32 v59, v67, v59
	v_mul_f32_e32 v67, 0x3f62ad3f, v47
	v_add_f32_e32 v53, v55, v53
	v_add_f32_e32 v55, v63, v68
	;; [unrolled: 1-line block ×3, first 2 shown]
	v_fma_f32 v6, v43, s4, -v100
	v_add_f32_e32 v53, v55, v53
	v_add_f32_e32 v55, v67, v71
	;; [unrolled: 1-line block ×3, first 2 shown]
	v_fma_f32 v6, v44, s5, -v101
	v_add_f32_e32 v58, v55, v53
	v_mul_f32_e32 v53, 0x3f62ad3f, v52
	v_add_f32_e32 v4, v6, v4
	v_fma_f32 v6, v47, s10, -v102
	v_fmac_f32_e32 v103, 0xbf29c268, v40
	v_mov_b32_e32 v52, v53
	v_mul_f32_e32 v54, 0x3f116cb1, v54
	v_add_f32_e32 v2, v2, v16
	v_add_f32_e32 v4, v6, v4
	;; [unrolled: 1-line block ×3, first 2 shown]
	v_fmac_f32_e32 v104, 0x3f7e222b, v41
	v_fmac_f32_e32 v52, 0x3eedf032, v40
	v_mov_b32_e32 v55, v54
	v_add_f32_e32 v2, v2, v18
	v_add_f32_e32 v6, v104, v6
	v_fmac_f32_e32 v105, 0xbf52af12, v42
	v_add_f32_e32 v52, v1, v52
	v_fmac_f32_e32 v55, 0x3f52af12, v41
	v_add_f32_e32 v2, v2, v20
	v_add_f32_e32 v6, v105, v6
	v_fmac_f32_e32 v106, 0x3e750f2a, v45
	v_add_f32_e32 v52, v55, v52
	v_mul_f32_e32 v55, 0x3df6dbef, v57
	v_add_f32_e32 v2, v2, v22
	v_add_f32_e32 v6, v106, v6
	v_fmac_f32_e32 v107, 0x3eedf032, v46
	v_mov_b32_e32 v57, v55
	v_add_f32_e32 v2, v2, v12
	v_add_f32_e32 v6, v107, v6
	v_fmac_f32_e32 v108, 0xbf6f5d39, v48
	v_fmac_f32_e32 v57, 0x3f7e222b, v42
	v_add_f32_e32 v3, v3, v7
	v_add_f32_e32 v2, v2, v14
	v_add_f32_e32 v7, v108, v6
	v_fma_f32 v6, v37, s7, -v109
	v_add_f32_e32 v52, v57, v52
	v_mul_f32_e32 v57, 0xbeb58ec6, v62
	v_add_f32_e32 v2, v2, v8
	v_add_f32_e32 v6, v0, v6
	v_fma_f32 v8, v38, s10, -v110
	v_mov_b32_e32 v60, v57
	v_add_f32_e32 v6, v8, v6
	v_fma_f32 v8, v39, s4, -v111
	v_fmac_f32_e32 v60, 0x3f6f5d39, v45
	v_add_f32_e32 v6, v8, v6
	v_fma_f32 v8, v43, s6, -v112
	v_add_f32_e32 v52, v60, v52
	v_mul_f32_e32 v60, 0xbf3f9e67, v66
	v_add_f32_e32 v6, v8, v6
	v_fma_f32 v8, v44, s11, -v113
	v_mov_b32_e32 v62, v60
	v_add_f32_e32 v3, v3, v17
	v_add_f32_e32 v6, v8, v6
	v_fma_f32 v8, v47, s5, -v114
	v_fmac_f32_e32 v115, 0xbf6f5d39, v40
	v_fmac_f32_e32 v62, 0x3f29c268, v46
	v_add_f32_e32 v3, v3, v19
	v_add_f32_e32 v6, v8, v6
	v_add_f32_e32 v8, v1, v115
	v_fmac_f32_e32 v116, 0x3f29c268, v41
	v_add_f32_e32 v52, v62, v52
	v_mul_f32_e32 v62, 0xbf788fa5, v69
	v_add_f32_e32 v3, v3, v21
	v_add_f32_e32 v8, v116, v8
	v_fmac_f32_e32 v117, 0x3eedf032, v42
	v_mov_b32_e32 v63, v62
	v_add_f32_e32 v3, v3, v23
	v_add_f32_e32 v8, v117, v8
	v_fmac_f32_e32 v118, 0xbf7e222b, v45
	v_fmac_f32_e32 v63, 0x3e750f2a, v48
	v_mul_f32_e32 v49, 0xbeedf032, v49
	v_add_f32_e32 v3, v3, v13
	v_add_f32_e32 v8, v118, v8
	v_fmac_f32_e32 v119, 0x3e750f2a, v46
	v_add_f32_e32 v52, v63, v52
	v_mov_b32_e32 v63, v49
	v_mul_f32_e32 v50, 0xbf52af12, v50
	v_add_f32_e32 v3, v3, v15
	v_add_f32_e32 v8, v119, v8
	v_fmac_f32_e32 v126, 0x3f52af12, v48
	v_fmac_f32_e32 v63, 0x3f62ad3f, v37
	v_mov_b32_e32 v64, v50
	v_add_f32_e32 v3, v3, v9
	v_add_f32_e32 v9, v126, v8
	v_fma_f32 v8, v37, s5, -v120
	v_add_f32_e32 v63, v0, v63
	v_fmac_f32_e32 v64, 0x3f116cb1, v38
	v_add_f32_e32 v2, v2, v10
	v_add_f32_e32 v8, v0, v8
	v_fma_f32 v10, v38, s7, -v121
	v_add_f32_e32 v63, v64, v63
	v_mul_f32_e32 v64, 0xbf7e222b, v51
	v_add_f32_e32 v8, v10, v8
	v_fma_f32 v10, v39, s11, -v122
	v_mov_b32_e32 v51, v64
	v_add_f32_e32 v8, v10, v8
	v_fma_f32 v10, v43, s10, -v123
	v_fmac_f32_e32 v51, 0x3df6dbef, v39
	v_mul_f32_e32 v56, 0xbf6f5d39, v56
	v_add_f32_e32 v8, v10, v8
	v_fma_f32 v10, v44, s6, -v124
	v_add_f32_e32 v51, v51, v63
	v_mov_b32_e32 v63, v56
	v_add_f32_e32 v8, v10, v8
	v_fma_f32 v10, v47, s4, -v127
	v_fmac_f32_e32 v63, 0xbeb58ec6, v43
	v_mul_f32_e32 v61, 0xbf29c268, v61
	v_add_f32_e32 v8, v10, v8
	v_fma_f32 v10, v37, s11, -v49
	v_add_f32_e32 v79, v80, v79
	v_mul_f32_e32 v80, 0x3eedf032, v45
	v_add_f32_e32 v51, v63, v51
	v_mov_b32_e32 v63, v61
	v_fmac_f32_e32 v53, 0xbeedf032, v40
	v_add_f32_e32 v0, v0, v10
	v_fma_f32 v10, v38, s4, -v50
	v_sub_f32_e32 v80, v82, v80
	v_fmac_f32_e32 v63, 0xbf3f9e67, v44
	v_add_f32_e32 v1, v1, v53
	v_fmac_f32_e32 v54, 0xbf52af12, v41
	v_add_f32_e32 v0, v10, v0
	v_fma_f32 v10, v39, s10, -v64
	v_add_f32_e32 v79, v80, v79
	v_mul_f32_e32 v80, 0xbf52af12, v46
	v_add_f32_e32 v51, v63, v51
	v_mul_f32_e32 v63, 0xbe750f2a, v65
	v_add_f32_e32 v1, v54, v1
	v_fmac_f32_e32 v55, 0xbf7e222b, v42
	v_add_f32_e32 v0, v10, v0
	v_fma_f32 v10, v43, s5, -v56
	v_sub_f32_e32 v80, v83, v80
	v_mul_f32_e32 v78, 0x3f7e222b, v46
	v_mov_b32_e32 v65, v63
	v_add_f32_e32 v1, v55, v1
	v_fmac_f32_e32 v57, 0xbf6f5d39, v45
	v_add_f32_e32 v0, v10, v0
	v_fma_f32 v10, v44, s7, -v61
	v_add_f32_e32 v79, v80, v79
	v_mul_f32_e32 v80, 0xbf29c268, v48
	v_sub_f32_e32 v70, v70, v78
	v_mul_f32_e32 v78, 0x3eedf032, v48
	v_fmac_f32_e32 v65, 0xbf788fa5, v47
	v_add_f32_e32 v3, v3, v11
	v_add_f32_e32 v1, v57, v1
	v_fmac_f32_e32 v60, 0xbf29c268, v46
	v_add_f32_e32 v0, v10, v0
	v_fma_f32 v10, v47, s6, -v63
	s_movk_i32 s4, 0x60
	v_sub_f32_e32 v80, v84, v80
	v_add_f32_e32 v59, v70, v59
	v_sub_f32_e32 v70, v72, v78
	v_add_f32_e32 v51, v65, v51
	v_add_f32_e32 v3, v3, v33
	;; [unrolled: 1-line block ×4, first 2 shown]
	v_fmac_f32_e32 v62, 0xbe750f2a, v48
	v_add_f32_e32 v0, v10, v0
	v_mad_u32_u24 v10, v24, s4, v34
	v_add_f32_e32 v74, v80, v79
	v_add_f32_e32 v59, v70, v59
	;; [unrolled: 1-line block ×3, first 2 shown]
	ds_write2_b64 v10, v[2:3], v[51:52] offset1:1
	ds_write2_b64 v10, v[58:59], v[73:74] offset0:2 offset1:3
	ds_write2_b64 v10, v[89:90], v[87:88] offset0:4 offset1:5
	;; [unrolled: 1-line block ×5, first 2 shown]
	ds_write_b64 v10, v[0:1] offset:96
.LBB0_13:
	s_or_b64 exec, exec, s[2:3]
	s_movk_i32 s2, 0x4f
	v_mul_lo_u16_sdwa v33, v24, s2 dst_sel:DWORD dst_unused:UNUSED_PAD src0_sel:BYTE_0 src1_sel:DWORD
	v_add_u32_e32 v32, 0x9c, v24
	v_lshrrev_b16_e32 v47, 10, v33
	s_movk_i32 s2, 0x4ec5
	v_mul_lo_u16_e32 v0, 13, v47
	v_mul_u32_u24_sdwa v49, v32, s2 dst_sel:DWORD dst_unused:UNUSED_PAD src0_sel:WORD_0 src1_sel:DWORD
	v_add_u32_e32 v23, 0x138, v24
	v_sub_u16_e32 v1, v24, v0
	v_mov_b32_e32 v0, 3
	v_lshrrev_b32_e32 v50, 18, v49
	v_lshlrev_b32_sdwa v48, v0, v1 dst_sel:DWORD dst_unused:UNUSED_PAD src0_sel:DWORD src1_sel:BYTE_0
	v_mul_lo_u16_e32 v1, 13, v50
	v_mul_u32_u24_sdwa v52, v23, s2 dst_sel:DWORD dst_unused:UNUSED_PAD src0_sel:WORD_0 src1_sel:DWORD
	v_add_u32_e32 v22, 0x1d4, v24
	v_sub_u16_e32 v1, v32, v1
	v_lshrrev_b32_e32 v53, 18, v52
	v_lshlrev_b32_e32 v51, 3, v1
	v_mul_lo_u16_e32 v1, 13, v53
	v_mul_u32_u24_sdwa v55, v22, s2 dst_sel:DWORD dst_unused:UNUSED_PAD src0_sel:WORD_0 src1_sel:DWORD
	v_sub_u16_e32 v1, v23, v1
	v_lshrrev_b32_e32 v56, 18, v55
	v_lshlrev_b32_e32 v54, 3, v1
	v_mul_lo_u16_e32 v1, 13, v56
	v_sub_u16_e32 v1, v22, v1
	s_waitcnt lgkmcnt(0)
	s_barrier
	v_add_u32_e32 v21, 0x270, v24
	v_lshlrev_b32_e32 v57, 3, v1
	global_load_dwordx2 v[37:38], v48, s[8:9]
	global_load_dwordx2 v[39:40], v51, s[8:9]
	;; [unrolled: 1-line block ×4, first 2 shown]
	v_mul_u32_u24_sdwa v58, v21, s2 dst_sel:DWORD dst_unused:UNUSED_PAD src0_sel:WORD_0 src1_sel:DWORD
	v_lshrrev_b32_e32 v59, 18, v58
	v_mul_lo_u16_e32 v1, 13, v59
	v_sub_u16_e32 v1, v21, v1
	v_lshlrev_b32_e32 v60, 3, v1
	global_load_dwordx2 v[45:46], v60, s[8:9]
	ds_read2_b64 v[5:8], v36 offset0:40 offset1:196
	ds_read2_b64 v[1:4], v34 offset1:156
	v_add_u32_e32 v61, 0x1200, v34
	v_add_u32_e32 v62, 0x800, v34
	ds_read2_b64 v[9:12], v35 offset0:96 offset1:252
	ds_read2_b64 v[13:16], v61 offset0:48 offset1:204
	;; [unrolled: 1-line block ×3, first 2 shown]
	s_waitcnt vmcnt(0) lgkmcnt(0)
	s_barrier
	v_lshrrev_b32_e32 v49, 19, v49
	v_cmp_gt_u32_e32 vcc, 52, v24
	v_mul_f32_e32 v63, v38, v16
	v_mul_f32_e32 v38, v38, v15
	;; [unrolled: 1-line block ×8, first 2 shown]
	v_fmac_f32_e32 v63, v37, v15
	v_fma_f32 v15, v37, v16, -v38
	v_fma_f32 v37, v41, v8, -v42
	v_fmac_f32_e32 v64, v39, v5
	v_fma_f32 v16, v39, v6, -v40
	v_fma_f32 v38, v43, v10, -v44
	v_sub_f32_e32 v5, v1, v63
	v_sub_f32_e32 v6, v2, v15
	;; [unrolled: 1-line block ×3, first 2 shown]
	v_mul_u32_u24_e32 v37, 0xd0, v47
	v_fma_f32 v1, v1, 2.0, -v5
	v_fma_f32 v2, v2, 2.0, -v6
	v_add3_u32 v37, 0, v37, v48
	v_fmac_f32_e32 v65, v41, v7
	v_sub_f32_e32 v7, v3, v64
	v_sub_f32_e32 v8, v4, v16
	ds_write2_b64 v37, v[1:2], v[5:6] offset1:13
	v_mul_u32_u24_e32 v1, 0xd0, v50
	v_fma_f32 v3, v3, 2.0, -v7
	v_fma_f32 v4, v4, 2.0, -v8
	v_add3_u32 v1, 0, v1, v51
	v_fmac_f32_e32 v66, v43, v9
	v_sub_f32_e32 v9, v17, v65
	ds_write2_b64 v1, v[3:4], v[7:8] offset1:13
	v_mul_u32_u24_e32 v1, 0xd0, v53
	v_mul_f32_e32 v67, v46, v12
	v_mul_f32_e32 v46, v46, v11
	v_fma_f32 v17, v17, 2.0, -v9
	v_fma_f32 v18, v18, 2.0, -v10
	v_add3_u32 v1, 0, v1, v54
	v_fmac_f32_e32 v67, v45, v11
	v_fma_f32 v39, v45, v12, -v46
	v_sub_f32_e32 v11, v19, v66
	v_sub_f32_e32 v12, v20, v38
	ds_write2_b64 v1, v[17:18], v[9:10] offset1:13
	v_mul_u32_u24_e32 v1, 0xd0, v56
	v_fma_f32 v19, v19, 2.0, -v11
	v_fma_f32 v20, v20, 2.0, -v12
	v_add3_u32 v1, 0, v1, v57
	v_sub_f32_e32 v15, v13, v67
	v_sub_f32_e32 v16, v14, v39
	ds_write2_b64 v1, v[19:20], v[11:12] offset1:13
	v_mul_u32_u24_e32 v1, 0xd0, v59
	v_fma_f32 v13, v13, 2.0, -v15
	v_fma_f32 v14, v14, 2.0, -v16
	v_add3_u32 v1, 0, v1, v60
	v_lshrrev_b16_e32 v47, 11, v33
	ds_write2_b64 v1, v[13:14], v[15:16] offset1:13
	v_mul_lo_u16_e32 v1, 26, v47
	v_sub_u16_e32 v1, v24, v1
	v_lshlrev_b32_sdwa v48, v0, v1 dst_sel:DWORD dst_unused:UNUSED_PAD src0_sel:DWORD src1_sel:BYTE_0
	v_mul_lo_u16_e32 v1, 26, v49
	v_sub_u16_e32 v1, v32, v1
	v_lshrrev_b32_e32 v51, 19, v52
	v_lshlrev_b32_e32 v50, 3, v1
	v_mul_lo_u16_e32 v1, 26, v51
	v_sub_u16_e32 v1, v23, v1
	v_lshrrev_b32_e32 v53, 19, v55
	v_lshlrev_b32_e32 v52, 3, v1
	v_mul_lo_u16_e32 v1, 26, v53
	v_sub_u16_e32 v1, v22, v1
	s_waitcnt lgkmcnt(0)
	s_barrier
	v_lshlrev_b32_e32 v54, 3, v1
	global_load_dwordx2 v[37:38], v48, s[8:9] offset:104
	global_load_dwordx2 v[39:40], v50, s[8:9] offset:104
	;; [unrolled: 1-line block ×4, first 2 shown]
	v_lshrrev_b32_e32 v55, 19, v58
	v_mul_lo_u16_e32 v1, 26, v55
	v_sub_u16_e32 v1, v21, v1
	v_lshlrev_b32_e32 v21, 3, v1
	global_load_dwordx2 v[45:46], v21, s[8:9] offset:104
	ds_read2_b64 v[1:4], v61 offset0:48 offset1:204
	ds_read2_b64 v[5:8], v34 offset1:156
	ds_read2_b64 v[9:12], v36 offset0:40 offset1:196
	ds_read2_b64 v[13:16], v62 offset0:56 offset1:212
	;; [unrolled: 1-line block ×3, first 2 shown]
	s_waitcnt vmcnt(0) lgkmcnt(0)
	s_barrier
	v_lshrrev_b16_e32 v33, 12, v33
	v_mul_f32_e32 v56, v38, v4
	v_mul_f32_e32 v38, v38, v3
	v_fmac_f32_e32 v56, v37, v3
	v_fma_f32 v4, v37, v4, -v38
	v_mul_f32_e32 v57, v40, v10
	v_mul_f32_e32 v40, v40, v9
	v_sub_f32_e32 v3, v5, v56
	v_sub_f32_e32 v4, v6, v4
	v_mul_u32_u24_e32 v37, 0x1a0, v47
	v_fmac_f32_e32 v57, v39, v9
	v_fma_f32 v10, v39, v10, -v40
	v_fma_f32 v5, v5, 2.0, -v3
	v_fma_f32 v6, v6, 2.0, -v4
	v_add3_u32 v37, 0, v37, v48
	v_mul_f32_e32 v58, v42, v12
	v_mul_f32_e32 v42, v42, v11
	v_sub_f32_e32 v9, v7, v57
	v_sub_f32_e32 v10, v8, v10
	ds_write2_b64 v37, v[5:6], v[3:4] offset1:26
	v_mul_u32_u24_e32 v3, 0x1a0, v49
	v_fmac_f32_e32 v58, v41, v11
	v_fma_f32 v12, v41, v12, -v42
	v_fma_f32 v7, v7, 2.0, -v9
	v_fma_f32 v8, v8, 2.0, -v10
	v_add3_u32 v3, 0, v3, v50
	v_mul_f32_e32 v59, v44, v18
	v_mul_f32_e32 v44, v44, v17
	v_sub_f32_e32 v11, v13, v58
	v_sub_f32_e32 v12, v14, v12
	ds_write2_b64 v3, v[7:8], v[9:10] offset1:26
	;; [unrolled: 11-line block ×3, first 2 shown]
	v_mul_u32_u24_e32 v3, 0x1a0, v53
	v_fmac_f32_e32 v60, v45, v19
	v_fma_f32 v20, v45, v20, -v46
	v_fma_f32 v15, v15, 2.0, -v17
	v_fma_f32 v16, v16, 2.0, -v18
	v_add3_u32 v3, 0, v3, v54
	v_sub_f32_e32 v19, v1, v60
	v_sub_f32_e32 v20, v2, v20
	ds_write2_b64 v3, v[15:16], v[17:18] offset1:26
	v_mul_u32_u24_e32 v3, 0x1a0, v55
	v_fma_f32 v1, v1, 2.0, -v19
	v_fma_f32 v2, v2, 2.0, -v20
	v_add3_u32 v3, 0, v3, v21
	ds_write2_b64 v3, v[1:2], v[19:20] offset1:26
	v_mul_lo_u16_e32 v1, 52, v33
	v_sub_u16_e32 v55, v24, v1
	v_mov_b32_e32 v1, 9
	v_mul_u32_u24_sdwa v1, v55, v1 dst_sel:DWORD dst_unused:UNUSED_PAD src0_sel:BYTE_0 src1_sel:DWORD
	v_lshlrev_b32_e32 v17, 3, v1
	s_waitcnt lgkmcnt(0)
	s_barrier
	global_load_dwordx4 v[1:4], v17, s[8:9] offset:312
	global_load_dwordx4 v[5:8], v17, s[8:9] offset:328
	global_load_dwordx4 v[9:12], v17, s[8:9] offset:344
	global_load_dwordx4 v[13:16], v17, s[8:9] offset:360
	global_load_dwordx2 v[53:54], v17, s[8:9] offset:376
	ds_read2_b64 v[17:20], v34 offset1:156
	ds_read2_b64 v[37:40], v62 offset0:56 offset1:212
	ds_read2_b64 v[41:44], v61 offset0:48 offset1:204
	;; [unrolled: 1-line block ×4, first 2 shown]
	v_lshlrev_b32_sdwa v0, v0, v55 dst_sel:DWORD dst_unused:UNUSED_PAD src0_sel:DWORD src1_sel:BYTE_0
	s_waitcnt vmcnt(0) lgkmcnt(0)
	s_barrier
	v_mul_f32_e32 v35, v4, v38
	v_mul_f32_e32 v56, v8, v42
	;; [unrolled: 1-line block ×8, first 2 shown]
	v_fmac_f32_e32 v35, v3, v37
	v_fmac_f32_e32 v56, v7, v41
	;; [unrolled: 1-line block ×3, first 2 shown]
	v_mul_f32_e32 v36, v6, v40
	v_mul_f32_e32 v6, v6, v39
	;; [unrolled: 1-line block ×6, first 2 shown]
	v_fmac_f32_e32 v21, v1, v19
	v_fma_f32 v19, v1, v20, -v2
	v_fma_f32 v1, v3, v38, -v4
	v_fmac_f32_e32 v57, v9, v43
	v_fma_f32 v4, v9, v44, -v10
	v_add_f32_e32 v9, v17, v35
	v_add_f32_e32 v10, v56, v58
	v_mul_f32_e32 v59, v48, v14
	v_mul_f32_e32 v14, v47, v14
	v_fmac_f32_e32 v36, v5, v39
	v_fma_f32 v2, v5, v40, -v6
	v_fma_f32 v3, v7, v42, -v8
	;; [unrolled: 1-line block ×4, first 2 shown]
	v_add_f32_e32 v9, v9, v56
	v_fma_f32 v12, -0.5, v10, v17
	v_fmac_f32_e32 v59, v47, v13
	v_fma_f32 v6, v48, v13, -v14
	v_fmac_f32_e32 v60, v49, v15
	v_sub_f32_e32 v11, v1, v7
	v_add_f32_e32 v9, v9, v58
	v_mov_b32_e32 v13, v12
	v_add_f32_e32 v14, v9, v60
	v_fmac_f32_e32 v13, 0xbf737871, v11
	v_sub_f32_e32 v9, v3, v5
	v_sub_f32_e32 v10, v35, v56
	;; [unrolled: 1-line block ×3, first 2 shown]
	v_fmac_f32_e32 v12, 0x3f737871, v11
	v_fmac_f32_e32 v13, 0xbf167918, v9
	v_add_f32_e32 v10, v10, v15
	v_fmac_f32_e32 v12, 0x3f167918, v9
	v_fmac_f32_e32 v13, 0x3e9e377a, v10
	;; [unrolled: 1-line block ×3, first 2 shown]
	v_add_f32_e32 v10, v35, v60
	v_fma_f32 v15, -0.5, v10, v17
	v_mov_b32_e32 v16, v15
	v_fmac_f32_e32 v16, 0x3f737871, v9
	v_fmac_f32_e32 v15, 0xbf737871, v9
	v_add_f32_e32 v9, v18, v1
	v_add_f32_e32 v9, v9, v3
	v_sub_f32_e32 v10, v56, v35
	v_sub_f32_e32 v17, v58, v60
	v_add_f32_e32 v9, v9, v5
	v_add_f32_e32 v10, v10, v17
	;; [unrolled: 1-line block ×4, first 2 shown]
	v_fma_f32 v37, -0.5, v9, v18
	v_fmac_f32_e32 v16, 0xbf167918, v11
	v_fmac_f32_e32 v15, 0x3f167918, v11
	v_sub_f32_e32 v9, v35, v60
	v_mov_b32_e32 v35, v37
	v_fmac_f32_e32 v16, 0x3e9e377a, v10
	v_fmac_f32_e32 v15, 0x3e9e377a, v10
	;; [unrolled: 1-line block ×3, first 2 shown]
	v_sub_f32_e32 v10, v56, v58
	v_sub_f32_e32 v11, v1, v3
	;; [unrolled: 1-line block ×3, first 2 shown]
	v_fmac_f32_e32 v37, 0xbf737871, v9
	v_fmac_f32_e32 v35, 0x3f167918, v10
	v_add_f32_e32 v11, v11, v20
	v_fmac_f32_e32 v37, 0xbf167918, v10
	v_fmac_f32_e32 v35, 0x3e9e377a, v11
	v_fmac_f32_e32 v37, 0x3e9e377a, v11
	v_add_f32_e32 v11, v1, v7
	v_fma_f32 v38, -0.5, v11, v18
	v_mov_b32_e32 v39, v38
	v_fmac_f32_e32 v39, 0xbf737871, v10
	v_sub_f32_e32 v1, v3, v1
	v_sub_f32_e32 v3, v5, v7
	v_fmac_f32_e32 v38, 0x3f737871, v10
	v_fmac_f32_e32 v39, 0x3f167918, v9
	v_add_f32_e32 v1, v1, v3
	v_fmac_f32_e32 v38, 0xbf167918, v9
	v_fmac_f32_e32 v39, 0x3e9e377a, v1
	;; [unrolled: 1-line block ×3, first 2 shown]
	v_add_f32_e32 v1, v21, v36
	v_mul_f32_e32 v61, v52, v54
	v_add_f32_e32 v1, v1, v57
	v_fmac_f32_e32 v61, v51, v53
	v_add_f32_e32 v1, v1, v59
	v_mul_f32_e32 v54, v51, v54
	v_add_f32_e32 v11, v1, v61
	v_add_f32_e32 v1, v57, v59
	v_fma_f32 v8, v52, v53, -v54
	v_fma_f32 v10, -0.5, v1, v21
	v_sub_f32_e32 v1, v2, v8
	v_mov_b32_e32 v18, v10
	v_fmac_f32_e32 v18, 0xbf737871, v1
	v_sub_f32_e32 v3, v4, v6
	v_sub_f32_e32 v5, v36, v57
	v_sub_f32_e32 v7, v61, v59
	v_fmac_f32_e32 v10, 0x3f737871, v1
	v_fmac_f32_e32 v18, 0xbf167918, v3
	v_add_f32_e32 v5, v5, v7
	v_fmac_f32_e32 v10, 0x3f167918, v3
	v_fmac_f32_e32 v18, 0x3e9e377a, v5
	;; [unrolled: 1-line block ×3, first 2 shown]
	v_add_f32_e32 v5, v36, v61
	v_fmac_f32_e32 v21, -0.5, v5
	v_mov_b32_e32 v20, v21
	v_fmac_f32_e32 v20, 0x3f737871, v3
	v_fmac_f32_e32 v21, 0xbf737871, v3
	;; [unrolled: 1-line block ×4, first 2 shown]
	v_add_f32_e32 v1, v19, v2
	v_add_f32_e32 v1, v1, v4
	;; [unrolled: 1-line block ×5, first 2 shown]
	v_sub_f32_e32 v5, v57, v36
	v_sub_f32_e32 v7, v59, v61
	v_fma_f32 v41, -0.5, v1, v19
	v_add_f32_e32 v5, v5, v7
	v_sub_f32_e32 v1, v36, v61
	v_mov_b32_e32 v36, v41
	v_fmac_f32_e32 v20, 0x3e9e377a, v5
	v_fmac_f32_e32 v21, 0x3e9e377a, v5
	;; [unrolled: 1-line block ×3, first 2 shown]
	v_sub_f32_e32 v3, v57, v59
	v_sub_f32_e32 v5, v2, v4
	v_sub_f32_e32 v7, v8, v6
	v_fmac_f32_e32 v41, 0xbf737871, v1
	v_fmac_f32_e32 v36, 0x3f167918, v3
	v_add_f32_e32 v5, v5, v7
	v_fmac_f32_e32 v41, 0xbf167918, v3
	v_fmac_f32_e32 v36, 0x3e9e377a, v5
	;; [unrolled: 1-line block ×3, first 2 shown]
	v_add_f32_e32 v5, v2, v8
	v_fmac_f32_e32 v19, -0.5, v5
	v_mov_b32_e32 v42, v19
	v_sub_f32_e32 v2, v4, v2
	v_sub_f32_e32 v4, v6, v8
	v_fmac_f32_e32 v19, 0x3f737871, v3
	v_fmac_f32_e32 v42, 0xbf737871, v3
	v_add_f32_e32 v2, v2, v4
	v_fmac_f32_e32 v19, 0xbf167918, v1
	v_fmac_f32_e32 v42, 0x3f167918, v1
	;; [unrolled: 1-line block ×4, first 2 shown]
	v_mul_f32_e32 v45, 0xbf737871, v19
	v_mul_f32_e32 v43, 0xbf167918, v36
	;; [unrolled: 1-line block ×3, first 2 shown]
	v_fmac_f32_e32 v45, 0xbe9e377a, v21
	v_mul_f32_e32 v36, 0x3f4f1bbd, v36
	v_mul_f32_e32 v42, 0x3e9e377a, v42
	v_fmac_f32_e32 v43, 0x3f4f1bbd, v18
	v_fmac_f32_e32 v44, 0x3e9e377a, v20
	v_add_f32_e32 v7, v15, v45
	v_mul_f32_e32 v46, 0xbf167918, v41
	v_fmac_f32_e32 v36, 0x3f167918, v18
	v_fmac_f32_e32 v42, 0x3f737871, v20
	v_mul_f32_e32 v47, 0xbe9e377a, v19
	v_mul_f32_e32 v41, 0xbf4f1bbd, v41
	v_sub_f32_e32 v20, v15, v45
	v_mul_u32_u24_e32 v15, 0x1040, v33
	v_add_f32_e32 v1, v14, v11
	v_add_f32_e32 v3, v13, v43
	v_fmac_f32_e32 v46, 0xbf4f1bbd, v10
	v_add_f32_e32 v2, v17, v40
	v_add_f32_e32 v4, v35, v36
	v_fmac_f32_e32 v47, 0x3f737871, v21
	v_fmac_f32_e32 v41, 0x3f167918, v10
	v_add3_u32 v0, 0, v15, v0
	v_add_f32_e32 v5, v16, v44
	v_add_f32_e32 v9, v12, v46
	;; [unrolled: 1-line block ×5, first 2 shown]
	v_sub_f32_e32 v11, v14, v11
	v_sub_f32_e32 v13, v13, v43
	;; [unrolled: 1-line block ×8, first 2 shown]
	ds_write2_b64 v0, v[1:2], v[3:4] offset1:52
	ds_write2_b64 v0, v[5:6], v[7:8] offset0:104 offset1:156
	v_add_u32_e32 v1, 0x400, v0
	v_add_u32_e32 v0, 0x800, v0
	;; [unrolled: 1-line block ×4, first 2 shown]
	v_sub_f32_e32 v17, v37, v41
	ds_write2_b64 v1, v[9:10], v[11:12] offset0:80 offset1:132
	ds_write2_b64 v0, v[13:14], v[18:19] offset0:56 offset1:108
	;; [unrolled: 1-line block ×3, first 2 shown]
	s_waitcnt lgkmcnt(0)
	s_barrier
	ds_read2_b64 v[4:7], v34 offset1:156
	ds_read2_b64 v[0:3], v33 offset0:24 offset1:232
	ds_read2_b64 v[12:15], v35 offset0:16 offset1:172
	;; [unrolled: 1-line block ×3, first 2 shown]
	ds_read_b64 v[20:21], v34 offset:10816
	s_and_saveexec_b64 s[2:3], vcc
	s_cbranch_execz .LBB0_15
; %bb.14:
	ds_read_b64 v[16:17], v34 offset:3744
	ds_read_b64 v[30:31], v34 offset:7904
	;; [unrolled: 1-line block ×3, first 2 shown]
.LBB0_15:
	s_or_b64 exec, exec, s[2:3]
	v_lshlrev_b32_e32 v18, 1, v24
	v_mov_b32_e32 v19, 0
	v_lshlrev_b64 v[36:37], 3, v[18:19]
	v_lshlrev_b32_e32 v18, 1, v32
	v_mov_b32_e32 v25, s9
	v_add_co_u32_e64 v36, s[2:3], s8, v36
	v_lshlrev_b64 v[40:41], 3, v[18:19]
	v_addc_co_u32_e64 v37, s[2:3], v25, v37, s[2:3]
	v_lshlrev_b32_e32 v18, 1, v23
	v_add_co_u32_e64 v40, s[2:3], s8, v40
	v_lshlrev_b64 v[44:45], 3, v[18:19]
	v_addc_co_u32_e64 v41, s[2:3], v25, v41, s[2:3]
	global_load_dwordx4 v[36:39], v[36:37], off offset:4056
	v_add_co_u32_e64 v44, s[2:3], s8, v44
	global_load_dwordx4 v[40:43], v[40:41], off offset:4056
	v_addc_co_u32_e64 v45, s[2:3], v25, v45, s[2:3]
	global_load_dwordx4 v[44:47], v[44:45], off offset:4056
	s_waitcnt vmcnt(0) lgkmcnt(0)
	s_barrier
	v_mul_f32_e32 v18, v37, v3
	v_mul_f32_e32 v23, v37, v2
	;; [unrolled: 1-line block ×4, first 2 shown]
	v_fmac_f32_e32 v18, v36, v2
	v_fma_f32 v2, v36, v3, -v23
	v_fmac_f32_e32 v25, v38, v12
	v_fma_f32 v3, v38, v13, -v32
	v_mul_f32_e32 v12, v41, v9
	v_mul_f32_e32 v13, v41, v8
	;; [unrolled: 1-line block ×4, first 2 shown]
	v_fmac_f32_e32 v12, v40, v8
	v_fma_f32 v8, v40, v9, -v13
	v_fmac_f32_e32 v23, v42, v14
	v_fma_f32 v13, v42, v15, -v32
	v_mul_f32_e32 v14, v45, v11
	v_mul_f32_e32 v9, v45, v10
	;; [unrolled: 1-line block ×4, first 2 shown]
	v_add_f32_e32 v36, v4, v18
	v_add_f32_e32 v37, v18, v25
	v_sub_f32_e32 v38, v2, v3
	v_add_f32_e32 v39, v5, v2
	v_add_f32_e32 v40, v2, v3
	v_sub_f32_e32 v18, v18, v25
	v_fmac_f32_e32 v14, v44, v10
	v_fma_f32 v41, v44, v11, -v9
	v_fmac_f32_e32 v15, v46, v20
	v_fma_f32 v20, v46, v21, -v32
	v_add_f32_e32 v2, v36, v25
	v_add_f32_e32 v11, v12, v23
	;; [unrolled: 1-line block ×6, first 2 shown]
	v_fma_f32 v6, -0.5, v11, v6
	v_add_f32_e32 v11, v25, v13
	v_add_f32_e32 v25, v14, v15
	;; [unrolled: 1-line block ×3, first 2 shown]
	v_fma_f32 v4, -0.5, v37, v4
	v_fma_f32 v5, -0.5, v40, v5
	v_sub_f32_e32 v21, v8, v13
	v_sub_f32_e32 v36, v12, v23
	v_add_f32_e32 v10, v10, v23
	v_fmac_f32_e32 v7, -0.5, v32
	v_add_f32_e32 v23, v0, v14
	v_add_f32_e32 v37, v1, v41
	v_mov_b32_e32 v12, v6
	v_fma_f32 v0, -0.5, v25, v0
	v_fmac_f32_e32 v1, -0.5, v39
	v_mov_b32_e32 v8, v4
	v_mov_b32_e32 v9, v5
	v_sub_f32_e32 v32, v41, v20
	v_sub_f32_e32 v40, v14, v15
	v_fmac_f32_e32 v6, 0x3f5db3d7, v21
	v_mov_b32_e32 v13, v7
	v_add_f32_e32 v14, v23, v15
	v_add_f32_e32 v15, v37, v20
	v_fmac_f32_e32 v12, 0xbf5db3d7, v21
	v_mov_b32_e32 v20, v0
	v_mov_b32_e32 v21, v1
	v_fmac_f32_e32 v4, 0x3f5db3d7, v38
	v_fmac_f32_e32 v5, 0xbf5db3d7, v18
	;; [unrolled: 1-line block ×8, first 2 shown]
	ds_write2_b64 v34, v[2:3], v[10:11] offset1:156
	ds_write2_b64 v35, v[4:5], v[6:7] offset0:16 offset1:172
	ds_write2_b64 v33, v[14:15], v[8:9] offset0:24 offset1:232
	v_add_u32_e32 v2, 0x1400, v34
	v_fmac_f32_e32 v0, 0x3f5db3d7, v32
	v_fmac_f32_e32 v1, 0xbf5db3d7, v40
	ds_write2_b64 v2, v[12:13], v[20:21] offset0:36 offset1:192
	ds_write_b64 v34, v[0:1] offset:10816
	s_and_saveexec_b64 s[2:3], vcc
	s_cbranch_execz .LBB0_17
; %bb.16:
	v_subrev_u32_e32 v0, 52, v24
	v_cndmask_b32_e32 v0, v0, v22, vcc
	v_lshlrev_b32_e32 v18, 1, v0
	v_lshlrev_b64 v[0:1], 3, v[18:19]
	v_mov_b32_e32 v2, s9
	v_add_co_u32_e32 v0, vcc, s8, v0
	v_addc_co_u32_e32 v1, vcc, v2, v1, vcc
	global_load_dwordx4 v[0:3], v[0:1], off offset:4056
	s_waitcnt vmcnt(0)
	v_mul_f32_e32 v4, v30, v1
	v_mul_f32_e32 v5, v28, v3
	;; [unrolled: 1-line block ×4, first 2 shown]
	v_fma_f32 v3, v31, v0, -v4
	v_fma_f32 v4, v29, v2, -v5
	v_fmac_f32_e32 v1, v30, v0
	v_fmac_f32_e32 v6, v28, v2
	v_add_f32_e32 v0, v3, v4
	v_add_f32_e32 v5, v1, v6
	v_sub_f32_e32 v7, v1, v6
	v_add_f32_e32 v2, v17, v3
	v_sub_f32_e32 v8, v3, v4
	v_add_f32_e32 v9, v16, v1
	v_fma_f32 v1, -0.5, v0, v17
	v_fma_f32 v0, -0.5, v5, v16
	v_add_f32_e32 v3, v2, v4
	v_add_f32_e32 v2, v9, v6
	v_mov_b32_e32 v5, v1
	v_fmac_f32_e32 v1, 0x3f5db3d7, v7
	v_mov_b32_e32 v4, v0
	v_fmac_f32_e32 v0, 0xbf5db3d7, v8
	ds_write_b64 v34, v[2:3] offset:3744
	v_fmac_f32_e32 v5, 0xbf5db3d7, v7
	v_fmac_f32_e32 v4, 0x3f5db3d7, v8
	ds_write_b64 v34, v[0:1] offset:7904
	ds_write_b64 v34, v[4:5] offset:12064
.LBB0_17:
	s_or_b64 exec, exec, s[2:3]
	s_waitcnt lgkmcnt(0)
	s_barrier
	ds_read_b64 v[0:1], v34
	s_add_u32 s4, s8, 0x3058
	v_lshlrev_b32_e32 v2, 3, v24
	s_addc_u32 s5, s9, 0
	v_sub_u32_e32 v6, 0, v2
	v_cmp_ne_u32_e32 vcc, 0, v24
                                        ; implicit-def: $vgpr2
                                        ; implicit-def: $vgpr7
                                        ; implicit-def: $vgpr8
                                        ; implicit-def: $vgpr4_vgpr5
	s_and_saveexec_b64 s[2:3], vcc
	s_xor_b64 s[2:3], exec, s[2:3]
	s_cbranch_execz .LBB0_19
; %bb.18:
	v_mov_b32_e32 v25, 0
	v_lshlrev_b64 v[2:3], 3, v[24:25]
	v_mov_b32_e32 v4, s5
	v_add_co_u32_e32 v2, vcc, s4, v2
	v_addc_co_u32_e32 v3, vcc, v4, v3, vcc
	global_load_dwordx2 v[2:3], v[2:3], off
	ds_read_b64 v[4:5], v6 offset:12480
	s_waitcnt lgkmcnt(0)
	v_add_f32_e32 v9, v4, v0
	v_sub_f32_e32 v0, v0, v4
	v_add_f32_e32 v7, v5, v1
	v_sub_f32_e32 v1, v1, v5
	v_mul_f32_e32 v0, 0.5, v0
	v_mul_f32_e32 v4, 0.5, v7
	;; [unrolled: 1-line block ×3, first 2 shown]
	s_waitcnt vmcnt(0)
	v_mul_f32_e32 v5, v3, v0
	v_fma_f32 v8, v4, v3, v1
	v_fma_f32 v1, v4, v3, -v1
	v_fma_f32 v7, 0.5, v9, v5
	v_fma_f32 v5, v9, 0.5, -v5
	v_fma_f32 v8, -v2, v0, v8
	v_fma_f32 v3, -v2, v0, v1
	v_fmac_f32_e32 v7, v2, v4
	v_fma_f32 v2, -v2, v4, v5
	v_mov_b32_e32 v4, v24
	v_mov_b32_e32 v5, v25
                                        ; implicit-def: $vgpr0_vgpr1
.LBB0_19:
	s_andn2_saveexec_b64 s[2:3], s[2:3]
	s_cbranch_execz .LBB0_21
; %bb.20:
	v_mov_b32_e32 v8, 0
	ds_read_b32 v3, v8 offset:6244
	v_mov_b32_e32 v4, 0
	s_waitcnt lgkmcnt(1)
	v_add_f32_e32 v7, v0, v1
	v_sub_f32_e32 v2, v0, v1
	v_mov_b32_e32 v5, 0
	s_waitcnt lgkmcnt(0)
	v_xor_b32_e32 v0, 0x80000000, v3
	v_mov_b32_e32 v3, 0
	ds_write_b32 v8, v0 offset:6244
.LBB0_21:
	s_or_b64 exec, exec, s[2:3]
	s_waitcnt lgkmcnt(0)
	v_lshlrev_b64 v[0:1], 3, v[4:5]
	v_mov_b32_e32 v5, s5
	v_add_co_u32_e32 v4, vcc, s4, v0
	v_addc_co_u32_e32 v5, vcc, v5, v1, vcc
	global_load_dwordx2 v[9:10], v[4:5], off offset:1248
	global_load_dwordx2 v[11:12], v[4:5], off offset:2496
	global_load_dwordx2 v[13:14], v[4:5], off offset:3744
	s_movk_i32 s2, 0x1000
	v_add_co_u32_e32 v4, vcc, s2, v4
	ds_write2_b32 v34, v7, v8 offset1:1
	ds_write_b64 v6, v[2:3] offset:12480
	v_addc_co_u32_e32 v5, vcc, 0, v5, vcc
	ds_read_b64 v[2:3], v34 offset:1248
	ds_read_b64 v[7:8], v6 offset:11232
	global_load_dwordx2 v[4:5], v[4:5], off offset:896
	v_add_u32_e32 v15, 0x400, v34
	s_waitcnt lgkmcnt(0)
	v_add_f32_e32 v16, v2, v7
	v_sub_f32_e32 v2, v2, v7
	v_add_f32_e32 v17, v3, v8
	v_sub_f32_e32 v3, v3, v8
	v_mul_f32_e32 v2, 0.5, v2
	v_mul_f32_e32 v7, 0.5, v17
	v_mul_f32_e32 v3, 0.5, v3
	s_waitcnt vmcnt(3)
	v_mul_f32_e32 v8, v10, v2
	v_fma_f32 v17, v7, v10, v3
	v_fma_f32 v3, v7, v10, -v3
	v_fma_f32 v10, 0.5, v16, v8
	v_fma_f32 v17, -v9, v2, v17
	v_fma_f32 v8, v16, 0.5, -v8
	v_fmac_f32_e32 v10, v9, v7
	v_fma_f32 v3, -v9, v2, v3
	v_fma_f32 v2, -v9, v7, v8
	ds_write2_b32 v15, v10, v17 offset0:56 offset1:57
	ds_write_b64 v6, v[2:3] offset:11232
	ds_read_b64 v[7:8], v34 offset:2496
	ds_read_b64 v[9:10], v6 offset:9984
	v_add_u32_e32 v2, 0x800, v34
	s_waitcnt lgkmcnt(0)
	v_add_f32_e32 v3, v7, v9
	v_sub_f32_e32 v7, v7, v9
	v_add_f32_e32 v15, v8, v10
	v_sub_f32_e32 v8, v8, v10
	v_mul_f32_e32 v7, 0.5, v7
	v_mul_f32_e32 v9, 0.5, v15
	v_mul_f32_e32 v8, 0.5, v8
	s_waitcnt vmcnt(2)
	v_mul_f32_e32 v10, v12, v7
	v_fma_f32 v15, v9, v12, v8
	v_fma_f32 v8, v9, v12, -v8
	v_fma_f32 v12, 0.5, v3, v10
	v_fma_f32 v15, -v11, v7, v15
	v_fma_f32 v3, v3, 0.5, -v10
	v_fmac_f32_e32 v12, v11, v9
	v_fma_f32 v8, -v11, v7, v8
	v_fma_f32 v7, -v11, v9, v3
	ds_write2_b32 v2, v12, v15 offset0:112 offset1:113
	ds_write_b64 v6, v[7:8] offset:9984
	ds_read_b64 v[7:8], v34 offset:3744
	ds_read_b64 v[9:10], v6 offset:8736
	v_add_u32_e32 v3, 0xc00, v34
	s_waitcnt lgkmcnt(0)
	v_add_f32_e32 v11, v7, v9
	v_sub_f32_e32 v7, v7, v9
	v_add_f32_e32 v12, v8, v10
	v_sub_f32_e32 v8, v8, v10
	v_mul_f32_e32 v7, 0.5, v7
	v_mul_f32_e32 v9, 0.5, v12
	v_mul_f32_e32 v8, 0.5, v8
	s_waitcnt vmcnt(1)
	v_mul_f32_e32 v10, v14, v7
	v_fma_f32 v12, v9, v14, v8
	v_fma_f32 v8, v9, v14, -v8
	v_fma_f32 v14, 0.5, v11, v10
	v_fma_f32 v12, -v13, v7, v12
	v_fma_f32 v10, v11, 0.5, -v10
	v_fmac_f32_e32 v14, v13, v9
	v_fma_f32 v8, -v13, v7, v8
	v_fma_f32 v7, -v13, v9, v10
	ds_write2_b32 v3, v14, v12 offset0:168 offset1:169
	ds_write_b64 v6, v[7:8] offset:8736
	ds_read_b64 v[7:8], v34 offset:4992
	ds_read_b64 v[9:10], v6 offset:7488
	v_add_u32_e32 v3, 0x1000, v34
	s_waitcnt lgkmcnt(0)
	v_add_f32_e32 v11, v7, v9
	v_sub_f32_e32 v7, v7, v9
	v_add_f32_e32 v12, v8, v10
	v_sub_f32_e32 v8, v8, v10
	v_mul_f32_e32 v7, 0.5, v7
	v_mul_f32_e32 v9, 0.5, v12
	;; [unrolled: 1-line block ×3, first 2 shown]
	s_waitcnt vmcnt(0)
	v_mul_f32_e32 v10, v5, v7
	v_fma_f32 v12, v9, v5, v8
	v_fma_f32 v5, v9, v5, -v8
	v_fma_f32 v8, 0.5, v11, v10
	v_fma_f32 v12, -v4, v7, v12
	v_fma_f32 v10, v11, 0.5, -v10
	v_fmac_f32_e32 v8, v4, v9
	v_fma_f32 v5, -v4, v7, v5
	v_fma_f32 v4, -v4, v9, v10
	ds_write2_b32 v3, v8, v12 offset0:224 offset1:225
	ds_write_b64 v6, v[4:5] offset:7488
	s_waitcnt lgkmcnt(0)
	s_barrier
	s_and_saveexec_b64 s[4:5], s[0:1]
	s_cbranch_execz .LBB0_24
; %bb.22:
	ds_read2_b64 v[5:8], v34 offset1:156
	v_mov_b32_e32 v3, s13
	v_add_co_u32_e32 v4, vcc, s12, v26
	v_addc_co_u32_e32 v3, vcc, v3, v27, vcc
	ds_read2_b64 v[9:12], v2 offset0:56 offset1:212
	v_add_co_u32_e32 v0, vcc, v4, v0
	v_addc_co_u32_e32 v1, vcc, v3, v1, vcc
	s_waitcnt lgkmcnt(1)
	global_store_dwordx2 v[0:1], v[5:6], off
	global_store_dwordx2 v[0:1], v[7:8], off offset:1248
	s_waitcnt lgkmcnt(0)
	global_store_dwordx2 v[0:1], v[9:10], off offset:2496
	global_store_dwordx2 v[0:1], v[11:12], off offset:3744
	v_add_u32_e32 v2, 0x1200, v34
	ds_read2_b64 v[5:8], v2 offset0:48 offset1:204
	v_add_u32_e32 v2, 0x1c00, v34
	ds_read2_b64 v[9:12], v2 offset0:40 offset1:196
	v_add_co_u32_e32 v13, vcc, s2, v0
	v_addc_co_u32_e32 v14, vcc, 0, v1, vcc
	s_waitcnt lgkmcnt(1)
	global_store_dwordx2 v[13:14], v[5:6], off offset:896
	global_store_dwordx2 v[13:14], v[7:8], off offset:2144
	s_waitcnt lgkmcnt(0)
	global_store_dwordx2 v[13:14], v[9:10], off offset:3392
	v_add_u32_e32 v2, 0x2400, v34
	ds_read2_b64 v[5:8], v2 offset0:96 offset1:252
	v_add_co_u32_e32 v0, vcc, 0x2000, v0
	v_addc_co_u32_e32 v1, vcc, 0, v1, vcc
	s_movk_i32 s0, 0x9b
	v_cmp_eq_u32_e32 vcc, s0, v24
	global_store_dwordx2 v[0:1], v[11:12], off offset:544
	s_waitcnt lgkmcnt(0)
	global_store_dwordx2 v[0:1], v[5:6], off offset:1792
	global_store_dwordx2 v[0:1], v[7:8], off offset:3040
	s_and_b64 exec, exec, vcc
	s_cbranch_execz .LBB0_24
; %bb.23:
	v_mov_b32_e32 v0, 0
	ds_read_b64 v[0:1], v0 offset:12480
	v_add_co_u32_e32 v2, vcc, 0x3000, v4
	v_addc_co_u32_e32 v3, vcc, 0, v3, vcc
	s_waitcnt lgkmcnt(0)
	global_store_dwordx2 v[2:3], v[0:1], off offset:192
.LBB0_24:
	s_endpgm
	.section	.rodata,"a",@progbits
	.p2align	6, 0x0
	.amdhsa_kernel fft_rtc_back_len1560_factors_13_2_2_10_3_wgs_156_tpt_156_sp_ip_CI_unitstride_sbrr_R2C_dirReg
		.amdhsa_group_segment_fixed_size 0
		.amdhsa_private_segment_fixed_size 0
		.amdhsa_kernarg_size 88
		.amdhsa_user_sgpr_count 6
		.amdhsa_user_sgpr_private_segment_buffer 1
		.amdhsa_user_sgpr_dispatch_ptr 0
		.amdhsa_user_sgpr_queue_ptr 0
		.amdhsa_user_sgpr_kernarg_segment_ptr 1
		.amdhsa_user_sgpr_dispatch_id 0
		.amdhsa_user_sgpr_flat_scratch_init 0
		.amdhsa_user_sgpr_private_segment_size 0
		.amdhsa_uses_dynamic_stack 0
		.amdhsa_system_sgpr_private_segment_wavefront_offset 0
		.amdhsa_system_sgpr_workgroup_id_x 1
		.amdhsa_system_sgpr_workgroup_id_y 0
		.amdhsa_system_sgpr_workgroup_id_z 0
		.amdhsa_system_sgpr_workgroup_info 0
		.amdhsa_system_vgpr_workitem_id 0
		.amdhsa_next_free_vgpr 128
		.amdhsa_next_free_sgpr 22
		.amdhsa_reserve_vcc 1
		.amdhsa_reserve_flat_scratch 0
		.amdhsa_float_round_mode_32 0
		.amdhsa_float_round_mode_16_64 0
		.amdhsa_float_denorm_mode_32 3
		.amdhsa_float_denorm_mode_16_64 3
		.amdhsa_dx10_clamp 1
		.amdhsa_ieee_mode 1
		.amdhsa_fp16_overflow 0
		.amdhsa_exception_fp_ieee_invalid_op 0
		.amdhsa_exception_fp_denorm_src 0
		.amdhsa_exception_fp_ieee_div_zero 0
		.amdhsa_exception_fp_ieee_overflow 0
		.amdhsa_exception_fp_ieee_underflow 0
		.amdhsa_exception_fp_ieee_inexact 0
		.amdhsa_exception_int_div_zero 0
	.end_amdhsa_kernel
	.text
.Lfunc_end0:
	.size	fft_rtc_back_len1560_factors_13_2_2_10_3_wgs_156_tpt_156_sp_ip_CI_unitstride_sbrr_R2C_dirReg, .Lfunc_end0-fft_rtc_back_len1560_factors_13_2_2_10_3_wgs_156_tpt_156_sp_ip_CI_unitstride_sbrr_R2C_dirReg
                                        ; -- End function
	.section	.AMDGPU.csdata,"",@progbits
; Kernel info:
; codeLenInByte = 8936
; NumSgprs: 26
; NumVgprs: 128
; ScratchSize: 0
; MemoryBound: 0
; FloatMode: 240
; IeeeMode: 1
; LDSByteSize: 0 bytes/workgroup (compile time only)
; SGPRBlocks: 3
; VGPRBlocks: 31
; NumSGPRsForWavesPerEU: 26
; NumVGPRsForWavesPerEU: 128
; Occupancy: 2
; WaveLimiterHint : 1
; COMPUTE_PGM_RSRC2:SCRATCH_EN: 0
; COMPUTE_PGM_RSRC2:USER_SGPR: 6
; COMPUTE_PGM_RSRC2:TRAP_HANDLER: 0
; COMPUTE_PGM_RSRC2:TGID_X_EN: 1
; COMPUTE_PGM_RSRC2:TGID_Y_EN: 0
; COMPUTE_PGM_RSRC2:TGID_Z_EN: 0
; COMPUTE_PGM_RSRC2:TIDIG_COMP_CNT: 0
	.type	__hip_cuid_7784483c3affa432,@object ; @__hip_cuid_7784483c3affa432
	.section	.bss,"aw",@nobits
	.globl	__hip_cuid_7784483c3affa432
__hip_cuid_7784483c3affa432:
	.byte	0                               ; 0x0
	.size	__hip_cuid_7784483c3affa432, 1

	.ident	"AMD clang version 19.0.0git (https://github.com/RadeonOpenCompute/llvm-project roc-6.4.0 25133 c7fe45cf4b819c5991fe208aaa96edf142730f1d)"
	.section	".note.GNU-stack","",@progbits
	.addrsig
	.addrsig_sym __hip_cuid_7784483c3affa432
	.amdgpu_metadata
---
amdhsa.kernels:
  - .args:
      - .actual_access:  read_only
        .address_space:  global
        .offset:         0
        .size:           8
        .value_kind:     global_buffer
      - .offset:         8
        .size:           8
        .value_kind:     by_value
      - .actual_access:  read_only
        .address_space:  global
        .offset:         16
        .size:           8
        .value_kind:     global_buffer
      - .actual_access:  read_only
        .address_space:  global
        .offset:         24
        .size:           8
        .value_kind:     global_buffer
      - .offset:         32
        .size:           8
        .value_kind:     by_value
      - .actual_access:  read_only
        .address_space:  global
        .offset:         40
        .size:           8
        .value_kind:     global_buffer
      - .actual_access:  read_only
        .address_space:  global
        .offset:         48
        .size:           8
        .value_kind:     global_buffer
      - .offset:         56
        .size:           4
        .value_kind:     by_value
      - .actual_access:  read_only
        .address_space:  global
        .offset:         64
        .size:           8
        .value_kind:     global_buffer
      - .actual_access:  read_only
        .address_space:  global
        .offset:         72
        .size:           8
        .value_kind:     global_buffer
      - .address_space:  global
        .offset:         80
        .size:           8
        .value_kind:     global_buffer
    .group_segment_fixed_size: 0
    .kernarg_segment_align: 8
    .kernarg_segment_size: 88
    .language:       OpenCL C
    .language_version:
      - 2
      - 0
    .max_flat_workgroup_size: 156
    .name:           fft_rtc_back_len1560_factors_13_2_2_10_3_wgs_156_tpt_156_sp_ip_CI_unitstride_sbrr_R2C_dirReg
    .private_segment_fixed_size: 0
    .sgpr_count:     26
    .sgpr_spill_count: 0
    .symbol:         fft_rtc_back_len1560_factors_13_2_2_10_3_wgs_156_tpt_156_sp_ip_CI_unitstride_sbrr_R2C_dirReg.kd
    .uniform_work_group_size: 1
    .uses_dynamic_stack: false
    .vgpr_count:     128
    .vgpr_spill_count: 0
    .wavefront_size: 64
amdhsa.target:   amdgcn-amd-amdhsa--gfx906
amdhsa.version:
  - 1
  - 2
...

	.end_amdgpu_metadata
